;; amdgpu-corpus repo=ROCm/rocFFT kind=compiled arch=gfx950 opt=O3
	.text
	.amdgcn_target "amdgcn-amd-amdhsa--gfx950"
	.amdhsa_code_object_version 6
	.protected	fft_rtc_fwd_len1792_factors_4_4_4_4_7_wgs_224_tpt_224_halfLds_sp_ip_CI_unitstride_sbrr_dirReg ; -- Begin function fft_rtc_fwd_len1792_factors_4_4_4_4_7_wgs_224_tpt_224_halfLds_sp_ip_CI_unitstride_sbrr_dirReg
	.globl	fft_rtc_fwd_len1792_factors_4_4_4_4_7_wgs_224_tpt_224_halfLds_sp_ip_CI_unitstride_sbrr_dirReg
	.p2align	8
	.type	fft_rtc_fwd_len1792_factors_4_4_4_4_7_wgs_224_tpt_224_halfLds_sp_ip_CI_unitstride_sbrr_dirReg,@function
fft_rtc_fwd_len1792_factors_4_4_4_4_7_wgs_224_tpt_224_halfLds_sp_ip_CI_unitstride_sbrr_dirReg: ; @fft_rtc_fwd_len1792_factors_4_4_4_4_7_wgs_224_tpt_224_halfLds_sp_ip_CI_unitstride_sbrr_dirReg
; %bb.0:
	s_load_dwordx2 s[8:9], s[0:1], 0x50
	s_load_dwordx4 s[4:7], s[0:1], 0x0
	s_load_dwordx2 s[10:11], s[0:1], 0x18
	v_mul_u32_u24_e32 v1, 0x125, v0
	v_add_u32_sdwa v6, s2, v1 dst_sel:DWORD dst_unused:UNUSED_PAD src0_sel:DWORD src1_sel:WORD_1
	v_mov_b32_e32 v4, 0
	s_waitcnt lgkmcnt(0)
	v_cmp_lt_u64_e64 s[2:3], s[6:7], 2
	v_mov_b32_e32 v7, v4
	s_and_b64 vcc, exec, s[2:3]
	v_mov_b64_e32 v[2:3], 0
	s_cbranch_vccnz .LBB0_8
; %bb.1:
	s_load_dwordx2 s[2:3], s[0:1], 0x10
	s_add_u32 s12, s10, 8
	s_addc_u32 s13, s11, 0
	s_mov_b64 s[14:15], 1
	v_mov_b64_e32 v[2:3], 0
	s_waitcnt lgkmcnt(0)
	s_add_u32 s16, s2, 8
	s_addc_u32 s17, s3, 0
.LBB0_2:                                ; =>This Inner Loop Header: Depth=1
	s_load_dwordx2 s[18:19], s[16:17], 0x0
                                        ; implicit-def: $vgpr8_vgpr9
	s_waitcnt lgkmcnt(0)
	v_or_b32_e32 v5, s19, v7
	v_cmp_ne_u64_e32 vcc, 0, v[4:5]
	s_and_saveexec_b64 s[2:3], vcc
	s_xor_b64 s[20:21], exec, s[2:3]
	s_cbranch_execz .LBB0_4
; %bb.3:                                ;   in Loop: Header=BB0_2 Depth=1
	v_cvt_f32_u32_e32 v1, s18
	v_cvt_f32_u32_e32 v5, s19
	s_sub_u32 s2, 0, s18
	s_subb_u32 s3, 0, s19
	v_fmac_f32_e32 v1, 0x4f800000, v5
	v_rcp_f32_e32 v1, v1
	s_nop 0
	v_mul_f32_e32 v1, 0x5f7ffffc, v1
	v_mul_f32_e32 v5, 0x2f800000, v1
	v_trunc_f32_e32 v5, v5
	v_fmac_f32_e32 v1, 0xcf800000, v5
	v_cvt_u32_f32_e32 v5, v5
	v_cvt_u32_f32_e32 v1, v1
	v_mul_lo_u32 v8, s2, v5
	v_mul_hi_u32 v10, s2, v1
	v_mul_lo_u32 v9, s3, v1
	v_add_u32_e32 v10, v10, v8
	v_mul_lo_u32 v12, s2, v1
	v_add_u32_e32 v13, v10, v9
	v_mul_hi_u32 v8, v1, v12
	v_mul_hi_u32 v11, v1, v13
	v_mul_lo_u32 v10, v1, v13
	v_mov_b32_e32 v9, v4
	v_lshl_add_u64 v[8:9], v[8:9], 0, v[10:11]
	v_mul_hi_u32 v11, v5, v12
	v_mul_lo_u32 v12, v5, v12
	v_add_co_u32_e32 v8, vcc, v8, v12
	v_mul_hi_u32 v10, v5, v13
	s_nop 0
	v_addc_co_u32_e32 v8, vcc, v9, v11, vcc
	v_mov_b32_e32 v9, v4
	s_nop 0
	v_addc_co_u32_e32 v11, vcc, 0, v10, vcc
	v_mul_lo_u32 v10, v5, v13
	v_lshl_add_u64 v[8:9], v[8:9], 0, v[10:11]
	v_add_co_u32_e32 v1, vcc, v1, v8
	v_mul_lo_u32 v10, s2, v1
	s_nop 0
	v_addc_co_u32_e32 v5, vcc, v5, v9, vcc
	v_mul_lo_u32 v8, s2, v5
	v_mul_hi_u32 v9, s2, v1
	v_add_u32_e32 v8, v9, v8
	v_mul_lo_u32 v9, s3, v1
	v_add_u32_e32 v12, v8, v9
	v_mul_hi_u32 v14, v5, v10
	v_mul_lo_u32 v15, v5, v10
	v_mul_hi_u32 v9, v1, v12
	v_mul_lo_u32 v8, v1, v12
	v_mul_hi_u32 v10, v1, v10
	v_mov_b32_e32 v11, v4
	v_lshl_add_u64 v[8:9], v[10:11], 0, v[8:9]
	v_add_co_u32_e32 v8, vcc, v8, v15
	v_mul_hi_u32 v13, v5, v12
	s_nop 0
	v_addc_co_u32_e32 v8, vcc, v9, v14, vcc
	v_mul_lo_u32 v10, v5, v12
	s_nop 0
	v_addc_co_u32_e32 v11, vcc, 0, v13, vcc
	v_mov_b32_e32 v9, v4
	v_lshl_add_u64 v[8:9], v[8:9], 0, v[10:11]
	v_add_co_u32_e32 v1, vcc, v1, v8
	v_mul_hi_u32 v10, v6, v1
	s_nop 0
	v_addc_co_u32_e32 v5, vcc, v5, v9, vcc
	v_mad_u64_u32 v[8:9], s[2:3], v6, v5, 0
	v_mov_b32_e32 v11, v4
	v_lshl_add_u64 v[8:9], v[10:11], 0, v[8:9]
	v_mad_u64_u32 v[12:13], s[2:3], v7, v1, 0
	v_add_co_u32_e32 v1, vcc, v8, v12
	v_mad_u64_u32 v[10:11], s[2:3], v7, v5, 0
	s_nop 0
	v_addc_co_u32_e32 v8, vcc, v9, v13, vcc
	v_mov_b32_e32 v9, v4
	s_nop 0
	v_addc_co_u32_e32 v11, vcc, 0, v11, vcc
	v_lshl_add_u64 v[8:9], v[8:9], 0, v[10:11]
	v_mul_lo_u32 v1, s19, v8
	v_mul_lo_u32 v5, s18, v9
	v_mad_u64_u32 v[10:11], s[2:3], s18, v8, 0
	v_add3_u32 v1, v11, v5, v1
	v_sub_u32_e32 v5, v7, v1
	v_mov_b32_e32 v11, s19
	v_sub_co_u32_e32 v14, vcc, v6, v10
	v_lshl_add_u64 v[12:13], v[8:9], 0, 1
	s_nop 0
	v_subb_co_u32_e64 v5, s[2:3], v5, v11, vcc
	v_subrev_co_u32_e64 v10, s[2:3], s18, v14
	v_subb_co_u32_e32 v1, vcc, v7, v1, vcc
	s_nop 0
	v_subbrev_co_u32_e64 v5, s[2:3], 0, v5, s[2:3]
	v_cmp_le_u32_e64 s[2:3], s19, v5
	v_cmp_le_u32_e32 vcc, s19, v1
	s_nop 0
	v_cndmask_b32_e64 v11, 0, -1, s[2:3]
	v_cmp_le_u32_e64 s[2:3], s18, v10
	s_nop 1
	v_cndmask_b32_e64 v10, 0, -1, s[2:3]
	v_cmp_eq_u32_e64 s[2:3], s19, v5
	s_nop 1
	v_cndmask_b32_e64 v5, v11, v10, s[2:3]
	v_lshl_add_u64 v[10:11], v[8:9], 0, 2
	v_cmp_ne_u32_e64 s[2:3], 0, v5
	s_nop 1
	v_cndmask_b32_e64 v5, v13, v11, s[2:3]
	v_cndmask_b32_e64 v11, 0, -1, vcc
	v_cmp_le_u32_e32 vcc, s18, v14
	s_nop 1
	v_cndmask_b32_e64 v13, 0, -1, vcc
	v_cmp_eq_u32_e32 vcc, s19, v1
	s_nop 1
	v_cndmask_b32_e32 v1, v11, v13, vcc
	v_cmp_ne_u32_e32 vcc, 0, v1
	v_cndmask_b32_e64 v1, v12, v10, s[2:3]
	s_nop 0
	v_cndmask_b32_e32 v9, v9, v5, vcc
	v_cndmask_b32_e32 v8, v8, v1, vcc
.LBB0_4:                                ;   in Loop: Header=BB0_2 Depth=1
	s_andn2_saveexec_b64 s[2:3], s[20:21]
	s_cbranch_execz .LBB0_6
; %bb.5:                                ;   in Loop: Header=BB0_2 Depth=1
	v_cvt_f32_u32_e32 v1, s18
	s_sub_i32 s20, 0, s18
	v_rcp_iflag_f32_e32 v1, v1
	s_nop 0
	v_mul_f32_e32 v1, 0x4f7ffffe, v1
	v_cvt_u32_f32_e32 v1, v1
	v_mul_lo_u32 v5, s20, v1
	v_mul_hi_u32 v5, v1, v5
	v_add_u32_e32 v1, v1, v5
	v_mul_hi_u32 v1, v6, v1
	v_mul_lo_u32 v5, v1, s18
	v_sub_u32_e32 v5, v6, v5
	v_add_u32_e32 v8, 1, v1
	v_subrev_u32_e32 v9, s18, v5
	v_cmp_le_u32_e32 vcc, s18, v5
	s_nop 1
	v_cndmask_b32_e32 v5, v5, v9, vcc
	v_cndmask_b32_e32 v1, v1, v8, vcc
	v_add_u32_e32 v8, 1, v1
	v_cmp_le_u32_e32 vcc, s18, v5
	v_mov_b32_e32 v9, v4
	s_nop 0
	v_cndmask_b32_e32 v8, v1, v8, vcc
.LBB0_6:                                ;   in Loop: Header=BB0_2 Depth=1
	s_or_b64 exec, exec, s[2:3]
	v_mad_u64_u32 v[10:11], s[2:3], v8, s18, 0
	s_load_dwordx2 s[2:3], s[12:13], 0x0
	v_mul_lo_u32 v1, v9, s18
	v_mul_lo_u32 v5, v8, s19
	v_add3_u32 v1, v11, v5, v1
	v_sub_co_u32_e32 v5, vcc, v6, v10
	s_add_u32 s14, s14, 1
	s_nop 0
	v_subb_co_u32_e32 v1, vcc, v7, v1, vcc
	s_addc_u32 s15, s15, 0
	s_waitcnt lgkmcnt(0)
	v_mul_lo_u32 v1, s2, v1
	v_mul_lo_u32 v6, s3, v5
	v_mad_u64_u32 v[2:3], s[2:3], s2, v5, v[2:3]
	s_add_u32 s12, s12, 8
	v_add3_u32 v3, v6, v3, v1
	s_addc_u32 s13, s13, 0
	v_mov_b64_e32 v[6:7], s[6:7]
	s_add_u32 s16, s16, 8
	v_cmp_ge_u64_e32 vcc, s[14:15], v[6:7]
	s_addc_u32 s17, s17, 0
	s_cbranch_vccnz .LBB0_9
; %bb.7:                                ;   in Loop: Header=BB0_2 Depth=1
	v_mov_b64_e32 v[6:7], v[8:9]
	s_branch .LBB0_2
.LBB0_8:
	v_mov_b64_e32 v[8:9], v[6:7]
.LBB0_9:
	s_lshl_b64 s[2:3], s[6:7], 3
	s_add_u32 s2, s10, s2
	s_addc_u32 s3, s11, s3
	s_load_dwordx2 s[6:7], s[2:3], 0x0
	s_load_dwordx2 s[10:11], s[0:1], 0x20
	s_mov_b32 s2, 0x124924a
	v_mov_b64_e32 v[6:7], 0
	v_mov_b64_e32 v[16:17], v[6:7]
	s_waitcnt lgkmcnt(0)
	v_mul_lo_u32 v1, s6, v9
	v_mul_lo_u32 v4, s7, v8
	v_mad_u64_u32 v[2:3], s[0:1], s6, v8, v[2:3]
	v_add3_u32 v3, v4, v3, v1
	v_mul_hi_u32 v1, v0, s2
	v_mul_u32_u24_e32 v1, 0xe0, v1
	v_cmp_gt_u64_e64 s[0:1], s[10:11], v[8:9]
	v_sub_u32_e32 v8, v0, v1
	v_lshl_add_u64 v[10:11], v[2:3], 3, s[8:9]
	v_mov_b64_e32 v[2:3], v[6:7]
	v_mov_b64_e32 v[0:1], v[6:7]
                                        ; implicit-def: $vgpr14
                                        ; implicit-def: $vgpr19
                                        ; implicit-def: $vgpr4
                                        ; implicit-def: $vgpr13
                                        ; implicit-def: $vgpr5
                                        ; implicit-def: $vgpr23
                                        ; implicit-def: $vgpr15
                                        ; implicit-def: $vgpr21
	s_and_saveexec_b64 s[2:3], s[0:1]
	s_cbranch_execz .LBB0_11
; %bb.10:
	v_mov_b32_e32 v9, 0
	v_lshl_add_u64 v[12:13], v[8:9], 3, v[10:11]
	v_add_co_u32_e32 v18, vcc, 0x1000, v12
	global_load_dwordx2 v[6:7], v[12:13], off
	s_nop 0
	v_addc_co_u32_e32 v19, vcc, 0, v13, vcc
	global_load_dwordx2 v[14:15], v[18:19], off offset:3072
	v_add_co_u32_e32 v24, vcc, 0x2000, v12
	s_nop 1
	v_addc_co_u32_e32 v25, vcc, 0, v13, vcc
	v_add_co_u32_e32 v26, vcc, 0x3000, v12
	s_nop 1
	v_addc_co_u32_e32 v27, vcc, 0, v13, vcc
	global_load_dwordx2 v[22:23], v[26:27], off offset:256
	global_load_dwordx2 v[20:21], v[24:25], off offset:2560
	;; [unrolled: 1-line block ×6, first 2 shown]
	s_waitcnt vmcnt(6)
	v_mov_b32_e32 v19, v15
	s_waitcnt vmcnt(4)
	v_mov_b32_e32 v15, v20
	;; [unrolled: 2-line block ×3, first 2 shown]
	v_mov_b32_e32 v5, v22
.LBB0_11:
	s_or_b64 exec, exec, s[2:3]
	s_waitcnt vmcnt(2)
	v_sub_f32_e32 v12, v1, v23
	s_waitcnt vmcnt(1)
	v_sub_f32_e32 v18, v17, v21
	v_add_f32_e32 v22, v17, v17
	v_mov_b32_e32 v23, v7
	v_pk_add_f32 v[22:23], v[22:23], v[18:19] neg_lo:[0,1] neg_hi:[0,1]
	v_add_f32_e32 v20, v7, v7
	v_mov_b32_e32 v21, v16
	v_sub_f32_e32 v7, v6, v14
	v_mov_b32_e32 v14, v23
	v_pk_add_f32 v[14:15], v[20:21], v[14:15] neg_lo:[0,1] neg_hi:[0,1]
	v_fma_f32 v6, v6, 2.0, -v7
	v_fma_f32 v16, v16, 2.0, -v15
	v_mov_b32_e32 v17, v18
	v_pk_add_f32 v[16:17], v[6:7], v[16:17] neg_lo:[0,1] neg_hi:[0,1]
	v_add_f32_e32 v26, v1, v1
	v_lshl_add_u32 v34, v8, 4, 0
	v_pk_fma_f32 v[6:7], v[6:7], 2.0, v[16:17] op_sel_hi:[1,0,1] neg_lo:[0,0,1] neg_hi:[0,0,1]
	s_waitcnt vmcnt(0)
	v_mov_b32_e32 v27, v3
	ds_write2_b64 v34, v[6:7], v[16:17] offset1:1
	v_pk_add_f32 v[6:7], v[26:27], v[12:13] neg_lo:[0,1] neg_hi:[0,1]
	v_add_f32_e32 v24, v3, v3
	v_mov_b32_e32 v25, v0
	v_sub_f32_e32 v3, v2, v4
	v_mov_b32_e32 v4, v7
	v_pk_add_f32 v[4:5], v[24:25], v[4:5] neg_lo:[0,1] neg_hi:[0,1]
	v_pk_add_f32 v[18:19], v[14:15], v[22:23] neg_lo:[0,1] neg_hi:[0,1]
	v_pk_add_f32 v[20:21], v[14:15], v[22:23]
	v_fma_f32 v2, v2, 2.0, -v3
	v_fma_f32 v0, v0, 2.0, -v5
	v_mov_b32_e32 v1, v12
	v_add_u32_e32 v36, 0xe0, v8
	v_mad_i32_i24 v37, v8, -12, v34
	v_mov_b32_e32 v19, v21
	v_mov_b32_e32 v15, v23
	v_pk_add_f32 v[0:1], v[2:3], v[0:1] neg_lo:[0,1] neg_hi:[0,1]
	v_pk_add_f32 v[12:13], v[4:5], v[6:7] neg_lo:[0,1] neg_hi:[0,1]
	v_pk_add_f32 v[16:17], v[4:5], v[6:7]
	v_lshl_add_u32 v9, v36, 4, 0
	v_pk_fma_f32 v[14:15], v[14:15], 2.0, v[18:19] op_sel_hi:[1,0,1] neg_lo:[0,0,1] neg_hi:[0,0,1]
	v_pk_fma_f32 v[2:3], v[2:3], 2.0, v[0:1] op_sel_hi:[1,0,1] neg_lo:[0,0,1] neg_hi:[0,0,1]
	v_mov_b32_e32 v13, v17
	v_mov_b32_e32 v5, v7
	v_add_u32_e32 v28, 0x700, v37
	v_add_u32_e32 v29, 0xe00, v37
	;; [unrolled: 1-line block ×3, first 2 shown]
	v_pk_fma_f32 v[4:5], v[4:5], 2.0, v[12:13] op_sel_hi:[1,0,1] neg_lo:[0,0,1] neg_hi:[0,0,1]
	ds_write2_b64 v9, v[2:3], v[0:1] offset1:1
	s_waitcnt lgkmcnt(0)
	s_barrier
	ds_read2_b32 v[6:7], v37 offset1:224
	ds_read2_b32 v[22:23], v28 offset1:224
	;; [unrolled: 1-line block ×4, first 2 shown]
	s_waitcnt lgkmcnt(0)
	s_barrier
	ds_write2_b64 v34, v[14:15], v[18:19] offset1:1
	ds_write2_b64 v9, v[4:5], v[12:13] offset1:1
	v_and_b32_e32 v9, 3, v8
	v_mul_u32_u24_e32 v0, 3, v9
	v_lshlrev_b32_e32 v12, 3, v0
	s_waitcnt lgkmcnt(0)
	s_barrier
	global_load_dwordx4 v[0:3], v12, s[4:5]
	global_load_dwordx2 v[4:5], v12, s[4:5] offset:16
	ds_read2_b32 v[12:13], v28 offset1:224
	ds_read2_b32 v[14:15], v29 offset1:224
	ds_read2_b32 v[16:17], v37 offset1:224
	ds_read2_b32 v[18:19], v30 offset1:224
	v_lshlrev_b32_e32 v33, 2, v8
	s_movk_i32 s2, 0x3f0
	v_lshlrev_b32_e32 v35, 2, v36
	s_waitcnt lgkmcnt(0)
	s_barrier
	s_movk_i32 s3, 0x300
	v_cmp_gt_u32_e32 vcc, 32, v8
	s_waitcnt vmcnt(1)
	v_mul_f32_e32 v20, v12, v1
	v_mul_f32_e32 v21, v22, v1
	s_waitcnt vmcnt(0)
	v_mul_f32_e32 v39, v26, v5
	v_mul_f32_e32 v40, v13, v1
	;; [unrolled: 1-line block ×6, first 2 shown]
	v_fma_f32 v20, v22, v0, -v20
	v_fmac_f32_e32 v21, v12, v0
	v_fmac_f32_e32 v39, v18, v4
	v_fma_f32 v18, v23, v0, -v40
	v_fmac_f32_e32 v1, v13, v0
	v_mul_f32_e32 v0, v15, v3
	v_mul_f32_e32 v3, v25, v3
	v_fma_f32 v12, v24, v2, -v31
	v_fmac_f32_e32 v32, v14, v2
	v_fma_f32 v14, v26, v4, -v38
	v_fma_f32 v0, v25, v2, -v0
	v_fmac_f32_e32 v3, v15, v2
	v_mul_f32_e32 v2, v19, v5
	v_mul_f32_e32 v5, v27, v5
	v_fma_f32 v2, v27, v4, -v2
	v_fmac_f32_e32 v5, v19, v4
	v_sub_f32_e32 v4, v6, v12
	v_sub_f32_e32 v12, v16, v32
	;; [unrolled: 1-line block ×4, first 2 shown]
	v_fma_f32 v19, v21, 2.0, -v15
	v_add_f32_e32 v21, v12, v14
	v_sub_f32_e32 v3, v17, v3
	v_sub_f32_e32 v5, v1, v5
	v_fma_f32 v13, v16, 2.0, -v12
	v_fma_f32 v22, v12, 2.0, -v21
	;; [unrolled: 1-line block ×6, first 2 shown]
	v_sub_f32_e32 v19, v13, v19
	v_sub_f32_e32 v1, v12, v1
	;; [unrolled: 1-line block ×3, first 2 shown]
	v_fma_f32 v20, v13, 2.0, -v19
	v_sub_f32_e32 v13, v4, v15
	v_sub_f32_e32 v0, v7, v0
	;; [unrolled: 1-line block ×3, first 2 shown]
	v_fma_f32 v17, v12, 2.0, -v1
	v_and_or_b32 v12, v33, s2, v9
	v_fma_f32 v6, v6, 2.0, -v16
	v_fma_f32 v4, v4, 2.0, -v13
	;; [unrolled: 1-line block ×4, first 2 shown]
	v_lshl_add_u32 v18, v12, 2, 0
	s_movk_i32 s2, 0x7f0
	v_sub_f32_e32 v14, v7, v14
	v_sub_f32_e32 v5, v0, v5
	ds_write2_b32 v18, v6, v4 offset1:4
	ds_write2_b32 v18, v16, v13 offset0:8 offset1:12
	v_and_or_b32 v4, v35, s2, v9
	v_fma_f32 v7, v7, 2.0, -v14
	v_add_f32_e32 v2, v3, v2
	v_fma_f32 v0, v0, 2.0, -v5
	v_lshl_add_u32 v9, v4, 2, 0
	v_fma_f32 v3, v3, 2.0, -v2
	ds_write2_b32 v9, v7, v0 offset1:4
	ds_write2_b32 v9, v14, v5 offset0:8 offset1:12
	s_waitcnt lgkmcnt(0)
	s_barrier
	ds_read2_b32 v[4:5], v37 offset1:224
	ds_read2_b32 v[6:7], v28 offset1:224
	;; [unrolled: 1-line block ×4, first 2 shown]
	s_waitcnt lgkmcnt(0)
	s_barrier
	ds_write2_b32 v18, v20, v22 offset1:4
	ds_write2_b32 v18, v19, v21 offset0:8 offset1:12
	ds_write2_b32 v9, v17, v3 offset1:4
	ds_write2_b32 v9, v1, v2 offset0:8 offset1:12
	v_and_b32_e32 v9, 15, v8
	v_mul_u32_u24_e32 v0, 3, v9
	v_lshlrev_b32_e32 v18, 3, v0
	s_waitcnt lgkmcnt(0)
	s_barrier
	global_load_dwordx4 v[0:3], v18, s[4:5] offset:96
	global_load_dwordx2 v[16:17], v18, s[4:5] offset:112
	ds_read2_b32 v[18:19], v28 offset1:224
	ds_read2_b32 v[20:21], v29 offset1:224
	;; [unrolled: 1-line block ×4, first 2 shown]
	s_movk_i32 s2, 0x3c0
	s_waitcnt lgkmcnt(0)
	s_barrier
	v_and_b32_e32 v38, 63, v8
	v_and_b32_e32 v39, 63, v36
	s_waitcnt vmcnt(1)
	v_mul_f32_e32 v27, v6, v1
	v_mul_f32_e32 v31, v20, v3
	v_mul_f32_e32 v26, v18, v1
	v_fmac_f32_e32 v27, v18, v0
	v_fma_f32 v18, v12, v2, -v31
	v_mul_f32_e32 v12, v12, v3
	v_fmac_f32_e32 v12, v20, v2
	s_waitcnt vmcnt(0)
	v_mul_f32_e32 v20, v24, v17
	v_fma_f32 v20, v14, v16, -v20
	v_mul_f32_e32 v14, v14, v17
	v_fmac_f32_e32 v14, v24, v16
	v_mul_f32_e32 v24, v19, v1
	v_mul_f32_e32 v1, v7, v1
	v_fma_f32 v6, v6, v0, -v26
	v_fma_f32 v24, v7, v0, -v24
	v_fmac_f32_e32 v1, v19, v0
	v_mul_f32_e32 v0, v21, v3
	v_mul_f32_e32 v3, v13, v3
	v_fma_f32 v0, v13, v2, -v0
	v_fmac_f32_e32 v3, v21, v2
	v_mul_f32_e32 v2, v25, v17
	v_mul_f32_e32 v7, v15, v17
	v_fma_f32 v2, v15, v16, -v2
	v_fmac_f32_e32 v7, v25, v16
	v_sub_f32_e32 v12, v22, v12
	v_sub_f32_e32 v16, v6, v20
	v_fma_f32 v15, v22, 2.0, -v12
	v_add_f32_e32 v22, v12, v16
	v_sub_f32_e32 v3, v23, v3
	v_sub_f32_e32 v7, v1, v7
	;; [unrolled: 1-line block ×4, first 2 shown]
	v_fma_f32 v25, v12, 2.0, -v22
	v_fma_f32 v12, v23, 2.0, -v3
	;; [unrolled: 1-line block ×6, first 2 shown]
	v_sub_f32_e32 v1, v12, v1
	v_sub_f32_e32 v6, v4, v6
	;; [unrolled: 1-line block ×6, first 2 shown]
	v_fma_f32 v23, v12, 2.0, -v1
	v_and_or_b32 v12, v33, s2, v9
	v_fma_f32 v4, v4, 2.0, -v6
	v_fma_f32 v19, v15, 2.0, -v18
	;; [unrolled: 1-line block ×5, first 2 shown]
	v_lshl_add_u32 v24, v12, 2, 0
	s_movk_i32 s2, 0x7c0
	v_sub_f32_e32 v15, v5, v15
	v_sub_f32_e32 v7, v0, v7
	ds_write2_b32 v24, v4, v13 offset1:16
	ds_write2_b32 v24, v6, v14 offset0:32 offset1:48
	v_and_or_b32 v4, v35, s2, v9
	v_fma_f32 v5, v5, 2.0, -v15
	v_fma_f32 v0, v0, 2.0, -v7
	v_lshl_add_u32 v4, v4, 2, 0
	v_add_f32_e32 v2, v3, v2
	ds_write2_b32 v4, v5, v0 offset1:16
	ds_write2_b32 v4, v15, v7 offset0:32 offset1:48
	v_mul_u32_u24_e32 v0, 3, v38
	v_fma_f32 v3, v3, 2.0, -v2
	s_waitcnt lgkmcnt(0)
	s_barrier
	ds_read2_b32 v[12:13], v37 offset1:224
	ds_read2_b32 v[14:15], v28 offset1:224
	;; [unrolled: 1-line block ×4, first 2 shown]
	s_waitcnt lgkmcnt(0)
	s_barrier
	ds_write2_b32 v24, v19, v25 offset1:16
	ds_write2_b32 v24, v18, v22 offset0:32 offset1:48
	ds_write2_b32 v4, v23, v3 offset1:16
	ds_write2_b32 v4, v1, v2 offset0:32 offset1:48
	v_lshlrev_b32_e32 v4, 3, v0
	s_waitcnt lgkmcnt(0)
	s_barrier
	global_load_dwordx4 v[0:3], v4, s[4:5] offset:480
	global_load_dwordx2 v[22:23], v4, s[4:5] offset:496
	v_mul_u32_u24_e32 v4, 3, v39
	v_lshlrev_b32_e32 v9, 3, v4
	global_load_dwordx4 v[4:7], v9, s[4:5] offset:480
	global_load_dwordx2 v[24:25], v9, s[4:5] offset:496
	ds_read2_b32 v[26:27], v28 offset1:224
	ds_read2_b32 v[18:19], v37 offset1:224
	;; [unrolled: 1-line block ×4, first 2 shown]
	s_movk_i32 s2, 0x700
	s_waitcnt lgkmcnt(0)
	s_barrier
	s_waitcnt vmcnt(3)
	v_mul_f32_e32 v9, v26, v1
	v_fma_f32 v32, v14, v0, -v9
	s_waitcnt vmcnt(2)
	v_mul_f32_e32 v9, v30, v23
	v_mul_f32_e32 v1, v14, v1
	v_fma_f32 v14, v20, v22, -v9
	v_mul_f32_e32 v20, v20, v23
	s_waitcnt vmcnt(1)
	v_mul_f32_e32 v9, v27, v5
	v_fmac_f32_e32 v1, v26, v0
	v_mul_f32_e32 v0, v28, v3
	v_fmac_f32_e32 v20, v30, v22
	v_fma_f32 v22, v15, v4, -v9
	v_mul_f32_e32 v9, v15, v5
	v_fma_f32 v0, v16, v2, -v0
	v_fmac_f32_e32 v9, v27, v4
	v_mul_f32_e32 v4, v29, v7
	s_waitcnt vmcnt(0)
	v_mul_f32_e32 v5, v31, v25
	v_mul_f32_e32 v15, v21, v25
	v_fma_f32 v4, v17, v6, -v4
	v_fma_f32 v5, v21, v24, -v5
	v_fmac_f32_e32 v15, v31, v24
	v_sub_f32_e32 v0, v12, v0
	v_sub_f32_e32 v26, v32, v14
	;; [unrolled: 1-line block ×3, first 2 shown]
	v_fma_f32 v12, v12, 2.0, -v0
	v_fma_f32 v14, v32, 2.0, -v26
	v_sub_f32_e32 v20, v0, v31
	v_sub_f32_e32 v4, v13, v4
	;; [unrolled: 1-line block ×4, first 2 shown]
	v_fma_f32 v21, v0, 2.0, -v20
	v_fma_f32 v0, v13, 2.0, -v4
	v_sub_f32_e32 v32, v9, v15
	v_fma_f32 v5, v22, 2.0, -v30
	v_and_or_b32 v15, v33, s3, v38
	v_fma_f32 v12, v12, 2.0, -v14
	v_sub_f32_e32 v5, v0, v5
	v_lshl_add_u32 v33, v15, 2, 0
	v_fma_f32 v13, v0, 2.0, -v5
	v_sub_f32_e32 v0, v4, v32
	ds_write2st64_b32 v33, v12, v21 offset1:1
	ds_write2st64_b32 v33, v14, v20 offset0:2 offset1:3
	v_and_or_b32 v12, v35, s2, v39
	v_fma_f32 v4, v4, 2.0, -v0
	v_lshl_add_u32 v35, v12, 2, 0
	ds_write2st64_b32 v35, v13, v4 offset1:1
	ds_write2st64_b32 v35, v5, v0 offset0:2 offset1:3
	s_waitcnt lgkmcnt(0)
	s_barrier
	ds_read2st64_b32 v[20:21], v37 offset1:4
	ds_read2st64_b32 v[24:25], v37 offset0:8 offset1:12
	ds_read2st64_b32 v[22:23], v37 offset0:16 offset1:20
	ds_read_b32 v27, v37 offset:6144
	v_mul_i32_i24_e32 v4, -12, v8
	v_add_u32_e32 v34, v34, v4
	v_lshl_add_u32 v37, v8, 2, 0
                                        ; implicit-def: $vgpr5
                                        ; implicit-def: $vgpr12
                                        ; implicit-def: $vgpr14
	s_and_saveexec_b64 s[2:3], vcc
	s_cbranch_execz .LBB0_13
; %bb.12:
	v_add_u32_e32 v12, 0x80, v37
	ds_read_b32 v0, v34 offset:896
	ds_read2st64_b32 v[4:5], v12 offset0:7 offset1:11
	ds_read2st64_b32 v[14:15], v12 offset0:15 offset1:19
	;; [unrolled: 1-line block ×3, first 2 shown]
.LBB0_13:
	s_or_b64 exec, exec, s[2:3]
	v_mul_f32_e32 v3, v16, v3
	v_fmac_f32_e32 v3, v28, v2
	v_mul_f32_e32 v2, v17, v7
	v_fmac_f32_e32 v2, v29, v6
	v_sub_f32_e32 v3, v18, v3
	v_fma_f32 v6, v18, 2.0, -v3
	v_fma_f32 v1, v1, 2.0, -v31
	v_sub_f32_e32 v2, v19, v2
	v_sub_f32_e32 v7, v6, v1
	v_fma_f32 v1, v19, 2.0, -v2
	v_fma_f32 v9, v9, 2.0, -v32
	v_add_f32_e32 v16, v3, v26
	v_sub_f32_e32 v9, v1, v9
	v_fma_f32 v6, v6, 2.0, -v7
	v_fma_f32 v3, v3, 2.0, -v16
	;; [unrolled: 1-line block ×3, first 2 shown]
	v_add_f32_e32 v1, v2, v30
	v_fma_f32 v2, v2, 2.0, -v1
	s_waitcnt lgkmcnt(0)
	s_barrier
	ds_write2st64_b32 v33, v6, v3 offset1:1
	ds_write2st64_b32 v33, v7, v16 offset0:2 offset1:3
	ds_write2st64_b32 v35, v17, v2 offset1:1
	ds_write2st64_b32 v35, v9, v1 offset0:2 offset1:3
	s_waitcnt lgkmcnt(0)
	s_barrier
	ds_read2st64_b32 v[28:29], v34 offset1:4
	ds_read2st64_b32 v[32:33], v34 offset0:8 offset1:12
	ds_read2st64_b32 v[30:31], v34 offset0:16 offset1:20
	ds_read_b32 v35, v34 offset:6144
                                        ; implicit-def: $vgpr3
                                        ; implicit-def: $vgpr16
                                        ; implicit-def: $vgpr6
	s_and_saveexec_b64 s[2:3], vcc
	s_cbranch_execz .LBB0_15
; %bb.14:
	v_add_u32_e32 v9, 0x80, v37
	ds_read_b32 v1, v34 offset:896
	ds_read2st64_b32 v[2:3], v9 offset0:7 offset1:11
	ds_read2st64_b32 v[6:7], v9 offset0:15 offset1:19
	;; [unrolled: 1-line block ×3, first 2 shown]
.LBB0_15:
	s_or_b64 exec, exec, s[2:3]
	s_and_saveexec_b64 s[2:3], s[0:1]
	s_cbranch_execz .LBB0_18
; %bb.16:
	v_mul_u32_u24_e32 v9, 6, v8
	v_lshlrev_b32_e32 v9, 3, v9
	global_load_dwordx4 v[38:41], v9, s[4:5] offset:2016
	global_load_dwordx4 v[42:45], v9, s[4:5] offset:2048
	;; [unrolled: 1-line block ×3, first 2 shown]
	s_waitcnt lgkmcnt(1)
	v_mov_b32_e32 v60, v31
	v_mov_b32_e32 v61, v33
	;; [unrolled: 1-line block ×12, first 2 shown]
	s_mov_b32 s0, 0x3f4a47b2
	s_mov_b32 s10, 0x3eae86e6
	;; [unrolled: 1-line block ×10, first 2 shown]
	v_mov_b32_e32 v9, 0
	v_lshl_add_u64 v[18:19], v[8:9], 3, v[10:11]
	s_mov_b32 s14, 0x3f3bfb3b
	s_mov_b32 s16, 0x3f5ff5aa
	v_or_b32_e32 v50, 0x200, v8
	v_mov_b32_e32 v51, v9
	v_lshl_add_u64 v[50:51], v[50:51], 3, v[10:11]
	v_or_b32_e32 v52, 0x300, v8
	v_or_b32_e32 v54, 0x400, v8
	;; [unrolled: 1-line block ×4, first 2 shown]
	v_mov_b32_e32 v53, v9
	v_mov_b32_e32 v55, v9
	;; [unrolled: 1-line block ×4, first 2 shown]
	v_lshl_add_u64 v[52:53], v[52:53], 3, v[10:11]
	v_lshl_add_u64 v[54:55], v[54:55], 3, v[10:11]
	;; [unrolled: 1-line block ×4, first 2 shown]
	s_waitcnt vmcnt(2)
	v_mov_b32_e32 v80, v41
	s_waitcnt vmcnt(1) lgkmcnt(0)
	v_mul_f32_e32 v33, v35, v45
	v_mov_b32_e32 v72, v43
	s_waitcnt vmcnt(0)
	v_mov_b32_e32 v73, v46
	v_mul_f32_e32 v74, v23, v43
	v_mov_b32_e32 v81, v48
	v_mov_b32_e32 v43, v47
	;; [unrolled: 1-line block ×5, first 2 shown]
	v_mul_f32_e32 v78, v24, v41
	v_mov_b32_e32 v41, v49
	v_mov_b32_e32 v82, v49
	;; [unrolled: 1-line block ×3, first 2 shown]
	v_pk_mul_f32 v[60:61], v[60:61], v[72:73]
	v_fmac_f32_e32 v74, v31, v42
	v_fma_f32 v33, v27, v44, -v33
	v_pk_mul_f32 v[44:45], v[66:67], v[80:81]
	v_mov_b32_e32 v31, v29
	v_mov_b32_e32 v23, v21
	;; [unrolled: 1-line block ×3, first 2 shown]
	v_fmac_f32_e32 v78, v32, v40
	v_pk_mul_f32 v[34:35], v[34:35], v[76:77]
	v_pk_fma_f32 v[62:63], v[62:63], v[42:43], v[60:61] neg_lo:[0,0,1] neg_hi:[0,0,1]
	v_pk_fma_f32 v[42:43], v[64:65], v[42:43], v[60:61]
	v_pk_fma_f32 v[24:25], v[24:25], v[40:41], v[44:45] neg_lo:[0,0,1] neg_hi:[0,0,1]
	v_pk_fma_f32 v[40:41], v[68:69], v[40:41], v[44:45]
	v_pk_mul_f32 v[30:31], v[30:31], v[82:83]
	v_pk_fma_f32 v[64:65], v[70:71], v[46:47], v[34:35] neg_lo:[0,0,1] neg_hi:[0,0,1]
	v_pk_fma_f32 v[26:27], v[26:27], v[46:47], v[34:35]
	v_mov_b32_e32 v63, v43
	v_mov_b32_e32 v25, v41
	v_pk_fma_f32 v[34:35], v[22:23], v[48:49], v[30:31] neg_lo:[0,0,1] neg_hi:[0,0,1]
	v_pk_fma_f32 v[22:23], v[22:23], v[48:49], v[30:31]
	v_mov_b32_e32 v65, v27
	v_pk_add_f32 v[30:31], v[24:25], v[62:63] neg_lo:[0,1] neg_hi:[0,1]
	v_mov_b32_e32 v35, v23
	v_mov_b32_e32 v79, v34
	;; [unrolled: 1-line block ×3, first 2 shown]
	v_mul_f32_e32 v37, v29, v39
	v_pk_add_f32 v[46:47], v[34:35], v[64:65]
	v_mov_b32_e32 v26, v27
	v_mov_b32_e32 v27, v64
	v_pk_add_f32 v[34:35], v[78:79], v[74:75] neg_lo:[0,1] neg_hi:[0,1]
	v_mov_b32_e32 v22, v23
	v_mov_b32_e32 v23, v30
	v_fma_f32 v39, v21, v38, -v37
	v_pk_add_f32 v[26:27], v[22:23], v[26:27] neg_lo:[0,1] neg_hi:[0,1]
	v_pk_add_f32 v[22:23], v[34:35], v[22:23]
	v_mov_b32_e32 v38, v41
	v_mov_b32_e32 v32, v43
	v_add_f32_e32 v61, v78, v74
	v_add_f32_e32 v44, v39, v33
	v_pk_add_f32 v[24:25], v[24:25], v[62:63]
	v_mov_b32_e32 v27, v23
	v_pk_add_f32 v[22:23], v[38:39], v[32:33] neg_lo:[0,1] neg_hi:[0,1]
	v_mov_b32_e32 v45, v25
	v_add_f32_e32 v48, v44, v24
	v_mov_b32_e32 v49, v25
	v_add_f32_e32 v63, v47, v61
	v_mov_b32_e32 v60, v46
	v_mov_b32_e32 v62, v46
	;; [unrolled: 1-line block ×6, first 2 shown]
	v_pk_add_f32 v[68:69], v[44:45], v[60:61] neg_lo:[0,1] neg_hi:[0,1]
	v_pk_add_f32 v[48:49], v[48:49], v[62:63]
	v_mov_b32_e32 v21, v28
	v_pk_add_f32 v[32:33], v[32:33], v[38:39] neg_lo:[0,1] neg_hi:[0,1]
	v_pk_add_f32 v[42:43], v[22:23], v[34:35]
	v_pk_add_f32 v[66:67], v[46:47], v[24:25] neg_lo:[0,1] neg_hi:[0,1]
	v_pk_mul_f32 v[68:69], v[68:69], s[0:1]
	v_pk_add_f32 v[20:21], v[20:21], v[48:49]
	v_pk_mul_f32 v[32:33], v[32:33], s[10:11]
	v_pk_add_f32 v[38:39], v[22:23], v[34:35] neg_lo:[0,1] neg_hi:[0,1]
	v_mov_b32_e32 v43, v23
	v_pk_mul_f32 v[70:71], v[66:67], s[2:3]
	v_pk_fma_f32 v[66:67], v[66:67], s[2:3], v[68:69]
	v_pk_fma_f32 v[28:29], v[48:49], s[6:7], v[20:21] op_sel_hi:[1,0,1]
	v_pk_mul_f32 v[40:41], v[38:39], s[12:13]
	v_pk_fma_f32 v[38:39], v[38:39], s[12:13], v[32:33]
	v_pk_add_f32 v[42:43], v[42:43], v[26:27]
	v_pk_add_f32 v[48:49], v[66:67], v[28:29]
	v_pk_fma_f32 v[38:39], v[42:43], s[8:9], v[38:39] op_sel_hi:[1,0,1]
	global_store_dwordx2 v[18:19], v[20:21], off
	v_pk_add_f32 v[62:63], v[48:49], v[38:39] neg_lo:[0,1] neg_hi:[0,1]
	v_pk_add_f32 v[38:39], v[48:49], v[38:39]
	v_mov_b32_e32 v21, v63
	v_mov_b32_e32 v20, v38
	v_mov_b32_e32 v25, v61
	v_mov_b32_e32 v45, v47
	v_mov_b32_e32 v35, v30
	v_mov_b32_e32 v27, v23
	global_store_dwordx2 v[18:19], v[20:21], off offset:2048
	v_mov_b32_e32 v20, v68
	v_mov_b32_e32 v21, v71
	v_pk_add_f32 v[24:25], v[24:25], v[44:45] neg_lo:[0,1] neg_hi:[0,1]
	v_pk_add_f32 v[22:23], v[34:35], v[26:27] neg_lo:[0,1] neg_hi:[0,1]
	v_mov_b32_e32 v26, v32
	v_mov_b32_e32 v27, v41
	v_pk_fma_f32 v[20:21], v[24:25], s[14:15], v[20:21] op_sel_hi:[1,0,1] neg_lo:[1,0,1] neg_hi:[1,0,1]
	v_pk_fma_f32 v[26:27], v[22:23], s[16:17], v[26:27] op_sel_hi:[1,0,1] neg_lo:[1,0,1] neg_hi:[1,0,1]
	v_pk_add_f32 v[20:21], v[20:21], v[28:29]
	v_pk_fma_f32 v[26:27], v[42:43], s[8:9], v[26:27] op_sel_hi:[1,0,1]
	v_mov_b32_e32 v41, v33
	v_mov_b32_e32 v71, v69
	v_pk_add_f32 v[30:31], v[20:21], v[26:27] neg_lo:[0,1] neg_hi:[0,1]
	v_pk_add_f32 v[20:21], v[20:21], v[26:27]
	v_pk_fma_f32 v[22:23], v[22:23], s[16:17], v[40:41] op_sel_hi:[1,0,1] neg_lo:[0,0,1] neg_hi:[0,0,1]
	v_pk_fma_f32 v[24:25], v[24:25], s[14:15], v[70:71] op_sel_hi:[1,0,1] neg_lo:[0,0,1] neg_hi:[0,0,1]
	v_mov_b32_e32 v26, v20
	v_mov_b32_e32 v27, v31
	v_pk_fma_f32 v[22:23], v[42:43], s[8:9], v[22:23] op_sel_hi:[1,0,1]
	v_pk_add_f32 v[24:25], v[24:25], v[28:29]
	global_store_dwordx2 v[50:51], v[26:27], off
	v_pk_add_f32 v[26:27], v[24:25], v[22:23]
	v_pk_add_f32 v[22:23], v[24:25], v[22:23] neg_lo:[0,1] neg_hi:[0,1]
	v_mov_b32_e32 v25, v27
	v_mov_b32_e32 v24, v22
	;; [unrolled: 1-line block ×5, first 2 shown]
	global_store_dwordx2 v[52:53], v[24:25], off
	global_store_dwordx2 v[54:55], v[26:27], off
	;; [unrolled: 1-line block ×4, first 2 shown]
	s_and_b64 exec, exec, vcc
	s_cbranch_execz .LBB0_18
; %bb.17:
	v_mov_b32_e32 v20, 6
	v_mul_u32_u24_sdwa v20, v36, v20 dst_sel:DWORD dst_unused:UNUSED_PAD src0_sel:BYTE_0 src1_sel:DWORD
	v_lshlrev_b32_e32 v32, 3, v20
	global_load_dwordx4 v[20:23], v32, s[4:5] offset:2016
	global_load_dwordx4 v[24:27], v32, s[4:5] offset:2032
	;; [unrolled: 1-line block ×3, first 2 shown]
	v_mov_b32_e32 v32, v13
	v_mov_b32_e32 v33, v15
	;; [unrolled: 1-line block ×15, first 2 shown]
	s_waitcnt vmcnt(2)
	v_mov_b32_e32 v46, v23
	s_waitcnt vmcnt(1)
	v_mov_b32_e32 v47, v24
	v_mov_b32_e32 v48, v27
	s_waitcnt vmcnt(0)
	v_mov_b32_e32 v49, v28
	v_mul_f32_e32 v4, v4, v21
	v_mul_f32_e32 v15, v16, v29
	;; [unrolled: 1-line block ×4, first 2 shown]
	v_mov_b32_e32 v54, v21
	v_mov_b32_e32 v55, v24
	;; [unrolled: 1-line block ×10, first 2 shown]
	v_fmac_f32_e32 v4, v2, v20
	v_fmac_f32_e32 v16, v17, v30
	v_fma_f32 v13, v5, v22, -v13
	v_pk_mul_f32 v[22:23], v[40:41], v[46:47]
	v_mov_b32_e32 v2, v6
	v_pk_mul_f32 v[30:31], v[38:39], v[54:55]
	v_fma_f32 v15, v12, v28, -v15
	v_pk_mul_f32 v[38:39], v[42:43], v[48:49]
	v_mov_b32_e32 v28, v26
	v_pk_mul_f32 v[36:37], v[36:37], v[56:57]
	v_pk_fma_f32 v[6:7], v[6:7], v[50:51], v[22:23] op_sel:[0,0,1] op_sel_hi:[0,1,0] neg_lo:[1,0,0] neg_hi:[1,0,0]
	v_pk_fma_f32 v[2:3], v[2:3], v[52:53], v[22:23] op_sel:[0,0,1] op_sel_hi:[1,1,0]
	v_pk_fma_f32 v[22:23], v[34:35], v[20:21], v[30:31] neg_lo:[0,0,1] neg_hi:[0,0,1]
	v_pk_fma_f32 v[20:21], v[34:35], v[20:21], v[30:31]
	v_pk_fma_f32 v[26:27], v[14:15], v[26:27], v[38:39] op_sel_hi:[0,1,1] neg_lo:[0,0,1] neg_hi:[0,0,1]
	v_pk_fma_f32 v[28:29], v[44:45], v[28:29], v[38:39]
	v_pk_fma_f32 v[30:31], v[32:33], v[24:25], v[36:37] neg_lo:[0,0,1] neg_hi:[0,0,1]
	v_pk_fma_f32 v[24:25], v[32:33], v[24:25], v[36:37]
	v_mov_b32_e32 v7, v3
	v_mov_b32_e32 v23, v21
	;; [unrolled: 1-line block ×12, first 2 shown]
	v_add_f32_e32 v41, v4, v16
	v_add_f32_e32 v2, v13, v15
	v_pk_add_f32 v[4:5], v[4:5], v[16:17] neg_lo:[0,1] neg_hi:[0,1]
	v_pk_add_f32 v[12:13], v[12:13], v[14:15] neg_lo:[0,1] neg_hi:[0,1]
	v_pk_add_f32 v[6:7], v[6:7], v[26:27]
	v_pk_add_f32 v[14:15], v[22:23], v[30:31]
	v_pk_add_f32 v[16:17], v[24:25], v[20:21] neg_lo:[0,1] neg_hi:[0,1]
	v_add_f32_e32 v20, v2, v14
	v_add_f32_e32 v23, v7, v41
	v_mov_b32_e32 v40, v6
	v_mov_b32_e32 v3, v15
	;; [unrolled: 1-line block ×8, first 2 shown]
	v_pk_add_f32 v[26:27], v[16:17], v[12:13]
	v_mov_b32_e32 v32, v4
	v_mov_b32_e32 v33, v17
	v_pk_add_f32 v[34:35], v[40:41], v[2:3] neg_lo:[0,1] neg_hi:[0,1]
	v_pk_add_f32 v[28:29], v[28:29], v[30:31] neg_lo:[0,1] neg_hi:[0,1]
	v_mov_b32_e32 v17, v13
	v_pk_add_f32 v[20:21], v[20:21], v[22:23]
	v_pk_add_f32 v[24:25], v[14:15], v[6:7] neg_lo:[0,1] neg_hi:[0,1]
	v_pk_add_f32 v[16:17], v[32:33], v[16:17] neg_lo:[0,1] neg_hi:[0,1]
	v_pk_add_f32 v[22:23], v[26:27], v[4:5]
	v_pk_add_f32 v[0:1], v[0:1], v[20:21]
	v_pk_mul_f32 v[26:27], v[34:35], s[2:3]
	v_pk_mul_f32 v[28:29], v[28:29], s[12:13]
	;; [unrolled: 1-line block ×4, first 2 shown]
	v_pk_fma_f32 v[20:21], v[20:21], s[6:7], v[0:1] op_sel_hi:[1,0,1]
	v_pk_fma_f32 v[24:25], v[24:25], s[0:1], v[26:27]
	v_pk_fma_f32 v[16:17], v[16:17], s[10:11], v[28:29]
	v_mov_b32_e32 v3, v7
	v_mov_b32_e32 v15, v41
	v_pk_add_f32 v[24:25], v[24:25], v[20:21]
	v_pk_fma_f32 v[16:17], v[22:23], s[8:9], v[16:17] op_sel_hi:[1,0,1]
	v_pk_add_f32 v[2:3], v[2:3], v[14:15] neg_lo:[0,1] neg_hi:[0,1]
	v_pk_add_f32 v[4:5], v[12:13], v[4:5] neg_lo:[0,1] neg_hi:[0,1]
	v_mov_b32_e32 v6, v30
	v_mov_b32_e32 v7, v27
	;; [unrolled: 1-line block ×4, first 2 shown]
	v_pk_fma_f32 v[6:7], v[2:3], s[14:15], v[6:7] op_sel_hi:[1,0,1] neg_lo:[1,0,1] neg_hi:[1,0,1]
	v_pk_fma_f32 v[12:13], v[4:5], s[16:17], v[12:13] op_sel_hi:[1,0,1] neg_lo:[1,0,1] neg_hi:[1,0,1]
	v_mov_b32_e32 v27, v31
	v_mov_b32_e32 v29, v33
	v_pk_add_f32 v[14:15], v[24:25], v[16:17]
	v_pk_add_f32 v[16:17], v[24:25], v[16:17] neg_lo:[0,1] neg_hi:[0,1]
	v_pk_add_f32 v[6:7], v[6:7], v[20:21]
	v_pk_fma_f32 v[2:3], v[2:3], s[14:15], v[26:27] op_sel_hi:[1,0,1] neg_lo:[0,0,1] neg_hi:[0,0,1]
	v_pk_fma_f32 v[4:5], v[4:5], s[16:17], v[28:29] op_sel_hi:[1,0,1] neg_lo:[0,0,1] neg_hi:[0,0,1]
	v_pk_fma_f32 v[12:13], v[22:23], s[8:9], v[12:13] op_sel_hi:[1,0,1]
	global_store_dwordx2 v[18:19], v[0:1], off offset:1792
	v_mov_b32_e32 v0, v14
	v_mov_b32_e32 v1, v17
	v_pk_add_f32 v[2:3], v[2:3], v[20:21]
	v_pk_fma_f32 v[4:5], v[22:23], s[8:9], v[4:5] op_sel_hi:[1,0,1]
	v_pk_add_f32 v[20:21], v[6:7], v[12:13]
	v_pk_add_f32 v[6:7], v[6:7], v[12:13] neg_lo:[0,1] neg_hi:[0,1]
	global_store_dwordx2 v[18:19], v[0:1], off offset:3840
	v_or_b32_e32 v0, 0x2e0, v8
	v_mov_b32_e32 v1, v9
	v_pk_add_f32 v[12:13], v[2:3], v[4:5] neg_lo:[0,1] neg_hi:[0,1]
	v_pk_add_f32 v[2:3], v[2:3], v[4:5]
	v_lshl_add_u64 v[0:1], v[0:1], 3, v[10:11]
	v_mov_b32_e32 v4, v20
	v_mov_b32_e32 v5, v7
	global_store_dwordx2 v[0:1], v[4:5], off
	v_or_b32_e32 v0, 0x3e0, v8
	v_mov_b32_e32 v1, v9
	v_lshl_add_u64 v[0:1], v[0:1], 3, v[10:11]
	v_mov_b32_e32 v4, v12
	v_mov_b32_e32 v5, v3
	global_store_dwordx2 v[0:1], v[4:5], off
	v_or_b32_e32 v0, 0x4e0, v8
	v_mov_b32_e32 v1, v9
	v_lshl_add_u64 v[0:1], v[0:1], 3, v[10:11]
	v_mov_b32_e32 v3, v13
	global_store_dwordx2 v[0:1], v[2:3], off
	v_or_b32_e32 v0, 0x5e0, v8
	v_mov_b32_e32 v1, v9
	v_lshl_add_u64 v[0:1], v[0:1], 3, v[10:11]
	v_mov_b32_e32 v7, v21
	v_or_b32_e32 v8, 0x6e0, v8
	global_store_dwordx2 v[0:1], v[6:7], off
	v_lshl_add_u64 v[0:1], v[8:9], 3, v[10:11]
	v_mov_b32_e32 v17, v15
	global_store_dwordx2 v[0:1], v[16:17], off
.LBB0_18:
	s_endpgm
	.section	.rodata,"a",@progbits
	.p2align	6, 0x0
	.amdhsa_kernel fft_rtc_fwd_len1792_factors_4_4_4_4_7_wgs_224_tpt_224_halfLds_sp_ip_CI_unitstride_sbrr_dirReg
		.amdhsa_group_segment_fixed_size 0
		.amdhsa_private_segment_fixed_size 0
		.amdhsa_kernarg_size 88
		.amdhsa_user_sgpr_count 2
		.amdhsa_user_sgpr_dispatch_ptr 0
		.amdhsa_user_sgpr_queue_ptr 0
		.amdhsa_user_sgpr_kernarg_segment_ptr 1
		.amdhsa_user_sgpr_dispatch_id 0
		.amdhsa_user_sgpr_kernarg_preload_length 0
		.amdhsa_user_sgpr_kernarg_preload_offset 0
		.amdhsa_user_sgpr_private_segment_size 0
		.amdhsa_uses_dynamic_stack 0
		.amdhsa_enable_private_segment 0
		.amdhsa_system_sgpr_workgroup_id_x 1
		.amdhsa_system_sgpr_workgroup_id_y 0
		.amdhsa_system_sgpr_workgroup_id_z 0
		.amdhsa_system_sgpr_workgroup_info 0
		.amdhsa_system_vgpr_workitem_id 0
		.amdhsa_next_free_vgpr 84
		.amdhsa_next_free_sgpr 22
		.amdhsa_accum_offset 84
		.amdhsa_reserve_vcc 1
		.amdhsa_float_round_mode_32 0
		.amdhsa_float_round_mode_16_64 0
		.amdhsa_float_denorm_mode_32 3
		.amdhsa_float_denorm_mode_16_64 3
		.amdhsa_dx10_clamp 1
		.amdhsa_ieee_mode 1
		.amdhsa_fp16_overflow 0
		.amdhsa_tg_split 0
		.amdhsa_exception_fp_ieee_invalid_op 0
		.amdhsa_exception_fp_denorm_src 0
		.amdhsa_exception_fp_ieee_div_zero 0
		.amdhsa_exception_fp_ieee_overflow 0
		.amdhsa_exception_fp_ieee_underflow 0
		.amdhsa_exception_fp_ieee_inexact 0
		.amdhsa_exception_int_div_zero 0
	.end_amdhsa_kernel
	.text
.Lfunc_end0:
	.size	fft_rtc_fwd_len1792_factors_4_4_4_4_7_wgs_224_tpt_224_halfLds_sp_ip_CI_unitstride_sbrr_dirReg, .Lfunc_end0-fft_rtc_fwd_len1792_factors_4_4_4_4_7_wgs_224_tpt_224_halfLds_sp_ip_CI_unitstride_sbrr_dirReg
                                        ; -- End function
	.section	.AMDGPU.csdata,"",@progbits
; Kernel info:
; codeLenInByte = 5604
; NumSgprs: 28
; NumVgprs: 84
; NumAgprs: 0
; TotalNumVgprs: 84
; ScratchSize: 0
; MemoryBound: 0
; FloatMode: 240
; IeeeMode: 1
; LDSByteSize: 0 bytes/workgroup (compile time only)
; SGPRBlocks: 3
; VGPRBlocks: 10
; NumSGPRsForWavesPerEU: 28
; NumVGPRsForWavesPerEU: 84
; AccumOffset: 84
; Occupancy: 5
; WaveLimiterHint : 1
; COMPUTE_PGM_RSRC2:SCRATCH_EN: 0
; COMPUTE_PGM_RSRC2:USER_SGPR: 2
; COMPUTE_PGM_RSRC2:TRAP_HANDLER: 0
; COMPUTE_PGM_RSRC2:TGID_X_EN: 1
; COMPUTE_PGM_RSRC2:TGID_Y_EN: 0
; COMPUTE_PGM_RSRC2:TGID_Z_EN: 0
; COMPUTE_PGM_RSRC2:TIDIG_COMP_CNT: 0
; COMPUTE_PGM_RSRC3_GFX90A:ACCUM_OFFSET: 20
; COMPUTE_PGM_RSRC3_GFX90A:TG_SPLIT: 0
	.text
	.p2alignl 6, 3212836864
	.fill 256, 4, 3212836864
	.type	__hip_cuid_195486fcad488b51,@object ; @__hip_cuid_195486fcad488b51
	.section	.bss,"aw",@nobits
	.globl	__hip_cuid_195486fcad488b51
__hip_cuid_195486fcad488b51:
	.byte	0                               ; 0x0
	.size	__hip_cuid_195486fcad488b51, 1

	.ident	"AMD clang version 19.0.0git (https://github.com/RadeonOpenCompute/llvm-project roc-6.4.0 25133 c7fe45cf4b819c5991fe208aaa96edf142730f1d)"
	.section	".note.GNU-stack","",@progbits
	.addrsig
	.addrsig_sym __hip_cuid_195486fcad488b51
	.amdgpu_metadata
---
amdhsa.kernels:
  - .agpr_count:     0
    .args:
      - .actual_access:  read_only
        .address_space:  global
        .offset:         0
        .size:           8
        .value_kind:     global_buffer
      - .offset:         8
        .size:           8
        .value_kind:     by_value
      - .actual_access:  read_only
        .address_space:  global
        .offset:         16
        .size:           8
        .value_kind:     global_buffer
      - .actual_access:  read_only
        .address_space:  global
        .offset:         24
        .size:           8
        .value_kind:     global_buffer
      - .offset:         32
        .size:           8
        .value_kind:     by_value
      - .actual_access:  read_only
        .address_space:  global
        .offset:         40
        .size:           8
        .value_kind:     global_buffer
      - .actual_access:  read_only
        .address_space:  global
        .offset:         48
        .size:           8
        .value_kind:     global_buffer
      - .offset:         56
        .size:           4
        .value_kind:     by_value
      - .actual_access:  read_only
        .address_space:  global
        .offset:         64
        .size:           8
        .value_kind:     global_buffer
      - .actual_access:  read_only
        .address_space:  global
        .offset:         72
        .size:           8
        .value_kind:     global_buffer
      - .address_space:  global
        .offset:         80
        .size:           8
        .value_kind:     global_buffer
    .group_segment_fixed_size: 0
    .kernarg_segment_align: 8
    .kernarg_segment_size: 88
    .language:       OpenCL C
    .language_version:
      - 2
      - 0
    .max_flat_workgroup_size: 224
    .name:           fft_rtc_fwd_len1792_factors_4_4_4_4_7_wgs_224_tpt_224_halfLds_sp_ip_CI_unitstride_sbrr_dirReg
    .private_segment_fixed_size: 0
    .sgpr_count:     28
    .sgpr_spill_count: 0
    .symbol:         fft_rtc_fwd_len1792_factors_4_4_4_4_7_wgs_224_tpt_224_halfLds_sp_ip_CI_unitstride_sbrr_dirReg.kd
    .uniform_work_group_size: 1
    .uses_dynamic_stack: false
    .vgpr_count:     84
    .vgpr_spill_count: 0
    .wavefront_size: 64
amdhsa.target:   amdgcn-amd-amdhsa--gfx950
amdhsa.version:
  - 1
  - 2
...

	.end_amdgpu_metadata
